;; amdgpu-corpus repo=ROCm/rocFFT kind=compiled arch=gfx950 opt=O3
	.text
	.amdgcn_target "amdgcn-amd-amdhsa--gfx950"
	.amdhsa_code_object_version 6
	.protected	bluestein_single_fwd_len280_dim1_sp_op_CI_CI ; -- Begin function bluestein_single_fwd_len280_dim1_sp_op_CI_CI
	.globl	bluestein_single_fwd_len280_dim1_sp_op_CI_CI
	.p2align	8
	.type	bluestein_single_fwd_len280_dim1_sp_op_CI_CI,@function
bluestein_single_fwd_len280_dim1_sp_op_CI_CI: ; @bluestein_single_fwd_len280_dim1_sp_op_CI_CI
; %bb.0:
	s_load_dwordx4 s[8:11], s[0:1], 0x28
	v_mul_u32_u24_e32 v1, 0x493, v0
	v_add_u32_sdwa v38, s2, v1 dst_sel:DWORD dst_unused:UNUSED_PAD src0_sel:DWORD src1_sel:WORD_1
	v_mov_b32_e32 v39, 0
	s_waitcnt lgkmcnt(0)
	v_cmp_gt_u64_e32 vcc, s[8:9], v[38:39]
	s_and_saveexec_b64 s[2:3], vcc
	s_cbranch_execz .LBB0_25
; %bb.1:
	s_load_dwordx2 s[12:13], s[0:1], 0x0
	s_load_dwordx2 s[14:15], s[0:1], 0x38
	v_mov_b32_e32 v2, 56
	v_mul_lo_u16_sdwa v1, v1, v2 dst_sel:DWORD dst_unused:UNUSED_PAD src0_sel:WORD_1 src1_sel:DWORD
	v_sub_u16_e32 v46, v0, v1
	v_cmp_gt_u16_e32 vcc, 35, v46
	v_lshlrev_b32_e32 v39, 3, v46
	s_and_saveexec_b64 s[2:3], vcc
	s_cbranch_execz .LBB0_3
; %bb.2:
	s_load_dwordx2 s[4:5], s[0:1], 0x18
	v_mov_b32_e32 v0, s10
	v_mov_b32_e32 v1, s11
	;; [unrolled: 1-line block ×3, first 2 shown]
	s_waitcnt lgkmcnt(0)
	s_load_dwordx4 s[4:7], s[4:5], 0x0
	s_waitcnt lgkmcnt(0)
	v_mad_u64_u32 v[2:3], s[8:9], s6, v38, 0
	v_mad_u64_u32 v[4:5], s[8:9], s4, v46, 0
	v_mov_b32_e32 v6, v3
	v_mov_b32_e32 v8, v5
	v_mad_u64_u32 v[6:7], s[6:7], s7, v38, v[6:7]
	v_mov_b32_e32 v3, v6
	v_mad_u64_u32 v[6:7], s[6:7], s5, v46, v[8:9]
	v_mov_b32_e32 v5, v6
	v_lshl_add_u64 v[0:1], v[2:3], 3, v[0:1]
	v_lshl_add_u64 v[0:1], v[4:5], 3, v[0:1]
	global_load_dwordx2 v[2:3], v[0:1], off
	v_mad_u64_u32 v[0:1], s[6:7], s4, v30, v[0:1]
	s_mul_i32 s8, s5, 0x118
	v_add_u32_e32 v1, s8, v1
	v_mad_u64_u32 v[8:9], s[6:7], s4, v30, v[0:1]
	v_add_u32_e32 v9, s8, v9
	global_load_dwordx2 v[4:5], v39, s[12:13]
	global_load_dwordx2 v[6:7], v39, s[12:13] offset:280
	global_load_dwordx2 v[10:11], v[0:1], off
	global_load_dwordx2 v[12:13], v[8:9], off
	v_mad_u64_u32 v[0:1], s[6:7], s4, v30, v[8:9]
	v_add_u32_e32 v1, s8, v1
	v_mad_u64_u32 v[16:17], s[6:7], s4, v30, v[0:1]
	v_add_u32_e32 v17, s8, v17
	global_load_dwordx2 v[8:9], v39, s[12:13] offset:560
	global_load_dwordx2 v[14:15], v39, s[12:13] offset:840
	global_load_dwordx2 v[18:19], v[16:17], off
	v_mad_u64_u32 v[16:17], s[6:7], s4, v30, v[16:17]
	global_load_dwordx2 v[0:1], v[0:1], off
	v_add_u32_e32 v17, s8, v17
	global_load_dwordx2 v[20:21], v39, s[12:13] offset:1120
	global_load_dwordx2 v[22:23], v[16:17], off
	global_load_dwordx2 v[24:25], v39, s[12:13] offset:1400
	v_mad_u64_u32 v[16:17], s[6:7], s4, v30, v[16:17]
	v_add_u32_e32 v17, s8, v17
	global_load_dwordx2 v[26:27], v[16:17], off
	global_load_dwordx2 v[28:29], v39, s[12:13] offset:1680
	v_mad_u64_u32 v[16:17], s[4:5], s4, v30, v[16:17]
	v_add_u32_e32 v17, s8, v17
	global_load_dwordx2 v[30:31], v39, s[12:13] offset:1960
	global_load_dwordx2 v[32:33], v[16:17], off
	s_waitcnt vmcnt(14)
	v_mul_f32_e32 v16, v3, v5
	v_mul_f32_e32 v5, v2, v5
	v_fmac_f32_e32 v16, v2, v4
	v_fma_f32 v17, v3, v4, -v5
	s_waitcnt vmcnt(12)
	v_mul_f32_e32 v2, v11, v7
	v_mul_f32_e32 v3, v10, v7
	v_fmac_f32_e32 v2, v10, v6
	v_fma_f32 v3, v11, v6, -v3
	ds_write2_b64 v39, v[16:17], v[2:3] offset1:35
	s_waitcnt vmcnt(10)
	v_mul_f32_e32 v2, v13, v9
	v_mul_f32_e32 v3, v12, v9
	v_fmac_f32_e32 v2, v12, v8
	v_fma_f32 v3, v13, v8, -v3
	s_waitcnt vmcnt(7)
	v_mul_f32_e32 v4, v1, v15
	v_mul_f32_e32 v5, v0, v15
	v_fmac_f32_e32 v4, v0, v14
	v_fma_f32 v5, v1, v14, -v5
	ds_write2_b64 v39, v[2:3], v[4:5] offset0:70 offset1:105
	s_waitcnt vmcnt(6)
	v_mul_f32_e32 v0, v19, v21
	v_mul_f32_e32 v1, v18, v21
	s_waitcnt vmcnt(4)
	v_mul_f32_e32 v2, v23, v25
	v_mul_f32_e32 v3, v22, v25
	v_fmac_f32_e32 v0, v18, v20
	v_fma_f32 v1, v19, v20, -v1
	v_fmac_f32_e32 v2, v22, v24
	v_fma_f32 v3, v23, v24, -v3
	ds_write2_b64 v39, v[0:1], v[2:3] offset0:140 offset1:175
	s_waitcnt vmcnt(2)
	v_mul_f32_e32 v0, v27, v29
	v_mul_f32_e32 v1, v26, v29
	s_waitcnt vmcnt(0)
	v_mul_f32_e32 v2, v33, v31
	v_mul_f32_e32 v3, v32, v31
	v_fmac_f32_e32 v0, v26, v28
	v_fma_f32 v1, v27, v28, -v1
	v_fmac_f32_e32 v2, v32, v30
	v_fma_f32 v3, v33, v30, -v3
	ds_write2_b64 v39, v[0:1], v[2:3] offset0:210 offset1:245
.LBB0_3:
	s_or_b64 exec, exec, s[2:3]
	s_waitcnt lgkmcnt(0)
	; wave barrier
	s_waitcnt lgkmcnt(0)
                                        ; implicit-def: $vgpr0
                                        ; implicit-def: $vgpr8
                                        ; implicit-def: $vgpr4
                                        ; implicit-def: $vgpr12
	s_and_saveexec_b64 s[2:3], vcc
	s_cbranch_execz .LBB0_5
; %bb.4:
	ds_read2_b64 v[0:3], v39 offset1:35
	ds_read2_b64 v[4:7], v39 offset0:70 offset1:105
	ds_read2_b64 v[8:11], v39 offset0:140 offset1:175
	;; [unrolled: 1-line block ×3, first 2 shown]
.LBB0_5:
	s_or_b64 exec, exec, s[2:3]
	s_waitcnt lgkmcnt(0)
	v_pk_add_f32 v[8:9], v[0:1], v[8:9] neg_lo:[0,1] neg_hi:[0,1]
	v_pk_add_f32 v[12:13], v[4:5], v[12:13] neg_lo:[0,1] neg_hi:[0,1]
	;; [unrolled: 1-line block ×4, first 2 shown]
	v_pk_fma_f32 v[0:1], v[0:1], 2.0, v[8:9] op_sel_hi:[1,0,1] neg_lo:[0,0,1] neg_hi:[0,0,1]
	v_pk_fma_f32 v[4:5], v[4:5], 2.0, v[12:13] op_sel_hi:[1,0,1] neg_lo:[0,0,1] neg_hi:[0,0,1]
	;; [unrolled: 1-line block ×4, first 2 shown]
	v_pk_add_f32 v[4:5], v[0:1], v[4:5] neg_lo:[0,1] neg_hi:[0,1]
	v_pk_add_f32 v[6:7], v[2:3], v[6:7] neg_lo:[0,1] neg_hi:[0,1]
	v_pk_fma_f32 v[16:17], v[0:1], 2.0, v[4:5] op_sel_hi:[1,0,1] neg_lo:[0,0,1] neg_hi:[0,0,1]
	v_pk_fma_f32 v[0:1], v[2:3], 2.0, v[6:7] op_sel_hi:[1,0,1] neg_lo:[0,0,1] neg_hi:[0,0,1]
	v_pk_add_f32 v[2:3], v[10:11], v[14:15] op_sel:[0,1] op_sel_hi:[1,0] neg_lo:[0,1] neg_hi:[0,1]
	v_pk_add_f32 v[14:15], v[10:11], v[14:15] op_sel:[0,1] op_sel_hi:[1,0]
	v_pk_add_f32 v[22:23], v[8:9], v[12:13] op_sel:[0,1] op_sel_hi:[1,0] neg_lo:[0,1] neg_hi:[0,1]
	v_pk_add_f32 v[26:27], v[8:9], v[12:13] op_sel:[0,1] op_sel_hi:[1,0]
	v_mov_b32_e32 v3, v15
	v_mov_b32_e32 v23, v27
	v_pk_fma_f32 v[10:11], v[10:11], 2.0, v[2:3] op_sel_hi:[1,0,1] neg_lo:[0,0,1] neg_hi:[0,0,1]
	s_mov_b32 s2, 0x3f3504f3
	v_pk_fma_f32 v[8:9], v[8:9], 2.0, v[22:23] op_sel_hi:[1,0,1] neg_lo:[0,0,1] neg_hi:[0,0,1]
	v_pk_mul_f32 v[18:19], v[10:11], s[2:3] op_sel_hi:[1,0]
	v_pk_fma_f32 v[28:29], v[10:11], s[2:3], v[8:9] op_sel_hi:[1,0,1] neg_lo:[1,0,0] neg_hi:[1,0,0]
	v_pk_add_f32 v[0:1], v[16:17], v[0:1] neg_lo:[0,1] neg_hi:[0,1]
	v_mov_b32_e32 v12, v29
	v_pk_fma_f32 v[24:25], v[10:11], s[2:3], v[12:13] op_sel_hi:[1,0,1]
	v_pk_add_f32 v[10:11], v[4:5], v[6:7] op_sel:[0,1] op_sel_hi:[1,0]
	v_pk_add_f32 v[12:13], v[4:5], v[6:7] op_sel:[0,1] op_sel_hi:[1,0] neg_lo:[0,1] neg_hi:[0,1]
	v_add_f32_e32 v29, v27, v27
	v_mov_b32_e32 v13, v11
	v_pk_fma_f32 v[20:21], v[4:5], 2.0, v[12:13] op_sel_hi:[1,0,1] neg_lo:[0,0,1] neg_hi:[0,0,1]
	v_pk_mul_f32 v[4:5], v[2:3], s[2:3] op_sel_hi:[1,0]
	v_pk_fma_f32 v[2:3], v[2:3], s[2:3], v[22:23] op_sel_hi:[1,0,1]
	v_pk_fma_f32 v[16:17], v[16:17], 2.0, v[0:1] op_sel_hi:[1,0,1] neg_lo:[0,0,1] neg_hi:[0,0,1]
	v_pk_add_f32 v[14:15], v[2:3], v[4:5] op_sel:[0,1] op_sel_hi:[1,0] neg_lo:[0,1] neg_hi:[0,1]
	v_pk_add_f32 v[2:3], v[2:3], v[4:5] op_sel:[0,1] op_sel_hi:[1,0]
	v_fma_f32 v22, v22, 2.0, -v14
	v_mov_b32_e32 v2, v19
	v_pk_add_f32 v[26:27], v[28:29], v[2:3] neg_lo:[0,1] neg_hi:[0,1]
	v_mov_b32_e32 v15, v3
	v_mov_b32_e32 v2, v26
	;; [unrolled: 1-line block ×3, first 2 shown]
	v_pk_fma_f32 v[18:19], v[8:9], 2.0, v[2:3] op_sel_hi:[1,0,1] neg_lo:[0,0,1] neg_hi:[0,0,1]
	v_lshlrev_b16_e32 v48, 3, v46
	s_waitcnt lgkmcnt(0)
	; wave barrier
	s_and_saveexec_b64 s[2:3], vcc
	s_cbranch_execz .LBB0_7
; %bb.6:
	v_lshlrev_b32_e32 v4, 3, v48
	ds_write_b128 v4, v[16:19]
	ds_write_b96 v4, v[20:22] offset:16
	ds_write2_b32 v4, v27, v0 offset0:7 offset1:8
	ds_write2_b32 v4, v1, v26 offset0:9 offset1:10
	ds_write_b32 v4, v24 offset:44
	ds_write_b128 v4, v[12:15] offset:48
.LBB0_7:
	s_or_b64 exec, exec, s[2:3]
	s_load_dwordx2 s[6:7], s[0:1], 0x8
	v_cmp_gt_u16_e64 s[4:5], 40, v46
	v_cmp_lt_u16_e64 s[2:3], 39, v46
	s_waitcnt lgkmcnt(0)
	; wave barrier
	s_waitcnt lgkmcnt(0)
                                        ; implicit-def: $vgpr30
                                        ; implicit-def: $vgpr28_vgpr29
	s_and_saveexec_b64 s[8:9], s[2:3]
	s_xor_b64 s[8:9], exec, s[8:9]
; %bb.8:
	v_mov_b32_e32 v28, v21
	v_mov_b32_e32 v29, v0
	;; [unrolled: 1-line block ×5, first 2 shown]
; %bb.9:
	s_or_saveexec_b64 s[8:9], s[8:9]
	s_load_dwordx2 s[0:1], s[0:1], 0x20
	s_xor_b64 exec, exec, s[8:9]
	s_cbranch_execz .LBB0_11
; %bb.10:
	ds_read2_b64 v[20:23], v39 offset0:80 offset1:120
	ds_read2_b64 v[24:27], v39 offset0:160 offset1:200
	ds_read2_b64 v[16:19], v39 offset1:40
	ds_read_b64 v[12:13], v39 offset:1920
	s_waitcnt lgkmcnt(0)
	v_mov_b32_e32 v28, v21
	v_mov_b32_e32 v29, v24
	;; [unrolled: 1-line block ×7, first 2 shown]
.LBB0_11:
	s_or_b64 exec, exec, s[8:9]
	v_and_b32_e32 v47, 7, v46
	v_mul_u32_u24_e32 v0, 6, v47
	v_lshlrev_b32_e32 v13, 3, v0
	s_waitcnt lgkmcnt(0)
	global_load_dwordx4 v[8:11], v13, s[6:7] offset:16
	global_load_dwordx4 v[0:3], v13, s[6:7]
	global_load_dwordx4 v[4:7], v13, s[6:7] offset:32
	s_mov_b32 s20, 0xbf08b237
	s_mov_b32 s22, 0x3f5ff5aa
	;; [unrolled: 1-line block ×8, first 2 shown]
	v_lshrrev_b32_e32 v49, 3, v46
	s_waitcnt lgkmcnt(0)
	; wave barrier
	s_waitcnt vmcnt(2)
	v_pk_mul_f32 v[22:23], v[26:27], v[8:9] op_sel:[0,1] op_sel_hi:[1,0]
	v_pk_mul_f32 v[32:33], v[24:25], v[8:9]
	s_waitcnt vmcnt(1)
	v_mov_b32_e32 v22, v3
	s_waitcnt vmcnt(0)
	v_mov_b32_e32 v32, v5
	v_pk_mul_f32 v[36:37], v[18:19], v[0:1] op_sel_hi:[0,1]
	v_mov_b32_e32 v44, v3
	v_mov_b32_e32 v45, v11
	;; [unrolled: 1-line block ×4, first 2 shown]
	v_pk_mul_f32 v[12:13], v[12:13], v[6:7] op_sel_hi:[0,1]
	v_mov_b32_e32 v40, v11
	v_mov_b32_e32 v41, v10
	;; [unrolled: 1-line block ×6, first 2 shown]
	v_pk_mul_f32 v[54:55], v[28:29], v[22:23]
	v_pk_mul_f32 v[44:45], v[20:21], v[44:45]
	;; [unrolled: 1-line block ×3, first 2 shown]
	v_pk_fma_f32 v[60:61], v[30:31], v[6:7], v[12:13] op_sel:[0,0,1] op_sel_hi:[0,1,0]
	v_pk_fma_f32 v[12:13], v[30:31], v[6:7], v[12:13] op_sel:[0,0,1] op_sel_hi:[0,1,0] neg_lo:[1,0,0] neg_hi:[1,0,0]
	v_pk_fma_f32 v[30:31], v[18:19], v[0:1], v[36:37] op_sel:[1,0,1] op_sel_hi:[1,1,0]
	v_pk_fma_f32 v[18:19], v[18:19], v[0:1], v[36:37] op_sel:[1,0,1] op_sel_hi:[1,1,0] neg_lo:[1,0,0] neg_hi:[1,0,0]
	v_pk_mul_f32 v[36:37], v[26:27], v[52:53]
	v_pk_mul_f32 v[34:35], v[28:29], v[10:11]
	;; [unrolled: 1-line block ×3, first 2 shown]
	v_pk_fma_f32 v[20:21], v[20:21], v[2:3], v[54:55] neg_lo:[0,0,1] neg_hi:[0,0,1]
	v_pk_fma_f32 v[26:27], v[26:27], v[4:5], v[58:59] neg_lo:[0,0,1] neg_hi:[0,0,1]
	v_pk_fma_f32 v[52:53], v[28:29], v[2:3], v[44:45]
	v_pk_fma_f32 v[28:29], v[28:29], v[42:43], v[44:45] neg_lo:[0,0,1] neg_hi:[0,0,1]
	v_pk_fma_f32 v[42:43], v[24:25], v[4:5], v[36:37]
	v_pk_fma_f32 v[24:25], v[24:25], v[50:51], v[36:37] neg_lo:[0,0,1] neg_hi:[0,0,1]
	v_mov_b32_e32 v31, v19
	v_mov_b32_e32 v61, v13
	;; [unrolled: 1-line block ×8, first 2 shown]
	v_pk_add_f32 v[12:13], v[30:31], v[60:61]
	v_pk_add_f32 v[32:33], v[56:57], v[34:35]
	v_mov_b32_e32 v19, v20
	v_mov_b32_e32 v23, v26
	v_pk_add_f32 v[20:21], v[20:21], v[26:27]
	v_pk_add_f32 v[26:27], v[52:53], v[42:43]
	v_mov_b32_e32 v24, v25
	v_mov_b32_e32 v28, v29
	;; [unrolled: 1-line block ×6, first 2 shown]
	v_pk_add_f32 v[34:35], v[52:53], v[42:43] neg_lo:[0,1] neg_hi:[0,1]
	v_pk_add_f32 v[42:43], v[20:21], v[32:33]
	v_mov_b32_e32 v33, v12
	v_pk_add_f32 v[12:13], v[18:19], v[22:23] neg_lo:[0,1] neg_hi:[0,1]
	v_pk_add_f32 v[22:23], v[24:25], v[28:29]
	v_pk_add_f32 v[30:31], v[30:31], v[60:61] neg_lo:[0,1] neg_hi:[0,1]
	v_mov_b32_e32 v36, v34
	v_mov_b32_e32 v21, v26
	;; [unrolled: 1-line block ×5, first 2 shown]
	v_pk_add_f32 v[24:25], v[34:35], v[12:13]
	v_mov_b32_e32 v13, v35
	v_pk_add_f32 v[18:19], v[20:21], v[32:33] neg_lo:[0,1] neg_hi:[0,1]
	v_pk_add_f32 v[28:29], v[42:43], v[22:23]
	v_pk_add_f32 v[34:35], v[36:37], v[30:31] neg_lo:[0,1] neg_hi:[0,1]
	v_pk_add_f32 v[22:23], v[26:27], v[20:21] neg_lo:[0,1] neg_hi:[0,1]
	;; [unrolled: 1-line block ×4, first 2 shown]
	v_pk_add_f32 v[24:25], v[24:25], v[30:31]
	v_pk_add_f32 v[16:17], v[16:17], v[28:29]
	v_pk_add_f32 v[12:13], v[30:31], v[12:13] neg_lo:[0,1] neg_hi:[0,1]
	v_pk_mul_f32 v[30:31], v[20:21], s[20:21] op_sel_hi:[1,0]
	v_pk_mul_f32 v[32:33], v[34:35], s[22:23] op_sel_hi:[1,0]
	;; [unrolled: 1-line block ×3, first 2 shown]
	v_pk_fma_f32 v[20:21], v[28:29], s[18:19], v[16:17] op_sel_hi:[1,0,1]
	v_pk_fma_f32 v[28:29], v[22:23], s[8:9], v[26:27] op_sel_hi:[1,0,1]
	v_pk_fma_f32 v[26:27], v[18:19], s[10:11], v[26:27] op_sel_hi:[1,0,1] neg_lo:[1,0,1] neg_hi:[1,0,1]
	v_pk_fma_f32 v[34:35], v[12:13], s[26:27], v[30:31] op_sel_hi:[1,0,1]
	v_pk_fma_f32 v[12:13], v[12:13], s[26:27], v[32:33] op_sel_hi:[1,0,1] neg_lo:[1,0,1] neg_hi:[1,0,1]
	v_pk_add_f32 v[42:43], v[28:29], v[20:21]
	v_pk_add_f32 v[26:27], v[26:27], v[20:21]
	v_pk_fma_f32 v[44:45], v[24:25], s[16:17], v[34:35] op_sel_hi:[1,0,1]
	v_pk_fma_f32 v[12:13], v[24:25], s[16:17], v[12:13] op_sel_hi:[1,0,1]
	v_pk_add_f32 v[36:37], v[42:43], v[44:45] neg_lo:[0,1] neg_hi:[0,1]
	v_pk_add_f32 v[34:35], v[26:27], v[12:13] neg_lo:[0,1] neg_hi:[0,1]
	v_pk_add_f32 v[28:29], v[26:27], v[12:13]
	v_pk_add_f32 v[42:43], v[42:43], v[44:45]
	v_mov_b32_e32 v26, v34
	v_mov_b32_e32 v27, v29
	;; [unrolled: 1-line block ×4, first 2 shown]
	s_and_saveexec_b64 s[18:19], s[4:5]
	s_cbranch_execz .LBB0_13
; %bb.12:
	v_mul_u32_u24_e32 v29, 56, v49
	v_pk_mul_f32 v[22:23], v[22:23], s[8:9] op_sel_hi:[1,0]
	v_pk_mul_f32 v[18:19], v[18:19], s[10:11] op_sel_hi:[1,0]
	v_or_b32_e32 v29, v29, v47
	v_pk_mul_f32 v[24:25], v[24:25], s[16:17] op_sel_hi:[1,0]
	v_pk_add_f32 v[18:19], v[18:19], v[22:23] neg_lo:[0,1] neg_hi:[0,1]
	v_pk_add_f32 v[22:23], v[32:33], v[30:31] neg_lo:[0,1] neg_hi:[0,1]
	v_lshlrev_b32_e32 v30, 3, v29
	v_mov_b32_e32 v43, v37
	ds_write2_b64 v30, v[16:17], v[42:43] offset1:8
	v_pk_add_f32 v[16:17], v[24:25], v[22:23]
	v_pk_add_f32 v[18:19], v[18:19], v[20:21]
	v_mov_b32_e32 v29, v35
	v_pk_add_f32 v[20:21], v[18:19], v[16:17] neg_lo:[0,1] neg_hi:[0,1]
	v_pk_add_f32 v[16:17], v[18:19], v[16:17]
	v_mov_b32_e32 v18, v20
	v_mov_b32_e32 v19, v17
	;; [unrolled: 1-line block ×3, first 2 shown]
	ds_write2_b64 v30, v[28:29], v[18:19] offset0:16 offset1:24
	ds_write2_b64 v30, v[16:17], v[26:27] offset0:32 offset1:40
	ds_write_b64 v30, v[12:13] offset:384
.LBB0_13:
	s_or_b64 exec, exec, s[18:19]
	v_lshlrev_b32_e32 v24, 5, v46
	s_load_dwordx4 s[8:11], s[0:1], 0x0
	s_waitcnt lgkmcnt(0)
	; wave barrier
	s_waitcnt lgkmcnt(0)
	global_load_dwordx4 v[20:23], v24, s[6:7] offset:384
	global_load_dwordx4 v[16:19], v24, s[6:7] offset:400
	ds_read2_b64 v[28:31], v39 offset1:56
	ds_read2_b64 v[32:35], v39 offset0:112 offset1:168
	ds_read_b64 v[24:25], v39 offset:1792
	s_mov_b32 s0, 0x3f737871
	s_mov_b32 s6, 0x3f167918
	;; [unrolled: 1-line block ×3, first 2 shown]
	s_waitcnt vmcnt(1) lgkmcnt(2)
	v_pk_mul_f32 v[36:37], v[30:31], v[20:21] op_sel:[0,1]
	s_waitcnt lgkmcnt(1)
	v_pk_mul_f32 v[42:43], v[32:33], v[22:23] op_sel_hi:[1,0]
	v_mov_b32_e32 v44, v23
	v_mov_b32_e32 v50, v23
	s_waitcnt vmcnt(0)
	v_pk_mul_f32 v[52:53], v[34:35], v[16:17] op_sel_hi:[1,0]
	v_mov_b32_e32 v54, v17
	v_mov_b32_e32 v56, v19
	v_pk_fma_f32 v[58:59], v[30:31], v[20:21], v[36:37] op_sel:[0,0,1] op_sel_hi:[1,1,0] neg_lo:[0,0,1] neg_hi:[0,0,1]
	v_pk_fma_f32 v[30:31], v[30:31], v[20:21], v[36:37] op_sel:[0,0,1] op_sel_hi:[1,0,0]
	v_pk_fma_f32 v[36:37], v[32:33], v[44:45], v[42:43] op_sel:[0,0,1] op_sel_hi:[1,1,0]
	v_pk_fma_f32 v[32:33], v[32:33], v[50:51], v[42:43] op_sel:[0,0,1] op_sel_hi:[1,0,0] neg_lo:[1,0,0] neg_hi:[1,0,0]
	v_pk_fma_f32 v[42:43], v[34:35], v[54:55], v[52:53] op_sel:[0,0,1] op_sel_hi:[1,1,0]
	v_pk_fma_f32 v[34:35], v[34:35], v[16:17], v[52:53] op_sel:[0,1,1] op_sel_hi:[1,1,0] neg_lo:[1,0,0] neg_hi:[1,0,0]
	s_waitcnt lgkmcnt(0)
	v_pk_mul_f32 v[44:45], v[24:25], v[56:57] op_sel_hi:[1,0]
	v_mov_b32_e32 v59, v31
	v_mov_b32_e32 v37, v33
	;; [unrolled: 1-line block ×3, first 2 shown]
	v_pk_fma_f32 v[30:31], v[24:25], v[18:19], v[44:45] op_sel:[0,0,1] op_sel_hi:[1,1,0] neg_lo:[0,0,1] neg_hi:[0,0,1]
	v_pk_fma_f32 v[24:25], v[24:25], v[18:19], v[44:45] op_sel:[0,0,1] op_sel_hi:[1,0,0]
	v_mov_b32_e32 v32, v33
	v_mov_b32_e32 v33, v36
	;; [unrolled: 1-line block ×3, first 2 shown]
	v_pk_add_f32 v[24:25], v[36:37], v[42:43] neg_lo:[0,1] neg_hi:[0,1]
	v_pk_add_f32 v[36:37], v[36:37], v[42:43]
	v_mov_b32_e32 v34, v35
	v_mov_b32_e32 v35, v42
	v_pk_add_f32 v[44:45], v[28:29], v[58:59]
	v_pk_add_f32 v[54:55], v[58:59], v[30:31]
	v_pk_mul_f32 v[36:37], v[36:37], 0.5 op_sel_hi:[1,0]
	v_pk_add_f32 v[50:51], v[58:59], v[32:33] neg_lo:[0,1] neg_hi:[0,1]
	v_pk_add_f32 v[42:43], v[32:33], v[58:59] neg_lo:[0,1] neg_hi:[0,1]
	v_pk_add_f32 v[52:53], v[58:59], v[30:31] neg_lo:[0,1] neg_hi:[0,1]
	v_pk_add_f32 v[32:33], v[44:45], v[32:33]
	v_pk_add_f32 v[44:45], v[30:31], v[34:35] neg_lo:[0,1] neg_hi:[0,1]
	v_pk_add_f32 v[56:57], v[34:35], v[30:31] neg_lo:[0,1] neg_hi:[0,1]
	v_pk_fma_f32 v[54:55], v[54:55], 0.5, v[28:29] op_sel_hi:[1,0,1] neg_lo:[1,0,0] neg_hi:[1,0,0]
	v_pk_add_f32 v[28:29], v[28:29], v[36:37] op_sel:[0,1] op_sel_hi:[1,0] neg_lo:[0,1] neg_hi:[0,1]
	v_pk_add_f32 v[44:45], v[50:51], v[44:45]
	v_pk_add_f32 v[36:37], v[42:43], v[56:57]
	;; [unrolled: 1-line block ×3, first 2 shown]
	v_pk_fma_f32 v[34:35], v[24:25], s[0:1], v[54:55] op_sel_hi:[1,0,1] neg_lo:[1,0,0] neg_hi:[1,0,0]
	v_pk_fma_f32 v[42:43], v[52:53], s[0:1], v[28:29] op_sel:[1,0,0] op_sel_hi:[0,0,1]
	v_pk_fma_f32 v[50:51], v[52:53], s[0:1], v[28:29] op_sel:[1,0,0] op_sel_hi:[0,0,1] neg_lo:[1,0,0] neg_hi:[1,0,0]
	v_pk_fma_f32 v[54:55], v[24:25], s[0:1], v[54:55] op_sel_hi:[1,0,1]
	v_pk_add_f32 v[28:29], v[32:33], v[30:31]
	v_pk_fma_f32 v[30:31], v[24:25], s[6:7], v[50:51] op_sel_hi:[1,0,1] neg_lo:[1,0,0] neg_hi:[1,0,0]
	v_pk_fma_f32 v[24:25], v[24:25], s[6:7], v[42:43] op_sel_hi:[1,0,1]
	v_pk_fma_f32 v[32:33], v[52:53], s[6:7], v[54:55] op_sel:[1,0,0] op_sel_hi:[0,0,1] neg_lo:[1,0,0] neg_hi:[1,0,0]
	v_pk_fma_f32 v[34:35], v[52:53], s[6:7], v[34:35] op_sel:[1,0,0] op_sel_hi:[0,0,1]
	v_mov_b32_e32 v42, v30
	v_mov_b32_e32 v43, v25
	;; [unrolled: 1-line block ×6, first 2 shown]
	v_pk_fma_f32 v[30:31], v[44:45], s[16:17], v[24:25] op_sel_hi:[1,0,1]
	v_pk_fma_f32 v[24:25], v[44:45], s[16:17], v[42:43] op_sel_hi:[1,0,1]
	v_pk_fma_f32 v[32:33], v[36:37], s[16:17], v[34:35] op_sel_hi:[1,0,1]
	v_pk_fma_f32 v[34:35], v[36:37], s[16:17], v[50:51] op_sel_hi:[1,0,1]
	ds_write2_b64 v39, v[28:29], v[30:31] offset1:56
	ds_write2_b64 v39, v[32:33], v[34:35] offset0:112 offset1:168
	ds_write_b64 v39, v[24:25] offset:1792
	s_waitcnt lgkmcnt(0)
	; wave barrier
	s_waitcnt lgkmcnt(0)
	s_and_saveexec_b64 s[0:1], vcc
	s_cbranch_execz .LBB0_15
; %bb.14:
	global_load_dwordx2 v[36:37], v39, s[12:13] offset:2240
	s_add_u32 s6, s12, 0x8c0
	s_addc_u32 s7, s13, 0
	global_load_dwordx2 v[58:59], v39, s[6:7] offset:1960
	global_load_dwordx2 v[60:61], v39, s[6:7] offset:280
	;; [unrolled: 1-line block ×7, first 2 shown]
	ds_read_b64 v[42:43], v39
	ds_read_b64 v[72:73], v39 offset:1960
	s_waitcnt vmcnt(7) lgkmcnt(1)
	v_mul_f32_e32 v44, v43, v37
	v_mul_f32_e32 v45, v42, v37
	v_fma_f32 v44, v42, v36, -v44
	v_fmac_f32_e32 v45, v43, v36
	ds_write_b64 v39, v[44:45]
	ds_read2_b64 v[42:45], v39 offset0:35 offset1:70
	ds_read2_b64 v[50:53], v39 offset0:105 offset1:140
	;; [unrolled: 1-line block ×3, first 2 shown]
	s_waitcnt vmcnt(6) lgkmcnt(4)
	v_mul_f32_e32 v36, v73, v59
	v_mul_f32_e32 v37, v72, v59
	v_fma_f32 v36, v72, v58, -v36
	v_fmac_f32_e32 v37, v73, v58
	s_waitcnt vmcnt(5) lgkmcnt(2)
	v_mul_f32_e32 v58, v43, v61
	v_mul_f32_e32 v59, v42, v61
	s_waitcnt vmcnt(4)
	v_mul_f32_e32 v72, v45, v63
	v_mul_f32_e32 v61, v44, v63
	s_waitcnt vmcnt(3) lgkmcnt(1)
	v_mul_f32_e32 v73, v51, v65
	v_mul_f32_e32 v63, v50, v65
	s_waitcnt vmcnt(2)
	v_mul_f32_e32 v74, v53, v67
	v_mul_f32_e32 v65, v52, v67
	;; [unrolled: 6-line block ×3, first 2 shown]
	v_fma_f32 v58, v42, v60, -v58
	v_fmac_f32_e32 v59, v43, v60
	v_fma_f32 v60, v44, v62, -v72
	v_fmac_f32_e32 v61, v45, v62
	;; [unrolled: 2-line block ×6, first 2 shown]
	ds_write2_b64 v39, v[58:59], v[60:61] offset0:35 offset1:70
	ds_write2_b64 v39, v[62:63], v[64:65] offset0:105 offset1:140
	;; [unrolled: 1-line block ×3, first 2 shown]
	ds_write_b64 v39, v[36:37] offset:1960
.LBB0_15:
	s_or_b64 exec, exec, s[0:1]
	s_waitcnt lgkmcnt(0)
	; wave barrier
	s_waitcnt lgkmcnt(0)
	s_and_saveexec_b64 s[0:1], vcc
	s_cbranch_execz .LBB0_17
; %bb.16:
	ds_read2_b64 v[28:31], v39 offset1:35
	ds_read2_b64 v[32:35], v39 offset0:70 offset1:105
	ds_read2_b64 v[24:27], v39 offset0:140 offset1:175
	;; [unrolled: 1-line block ×3, first 2 shown]
.LBB0_17:
	s_or_b64 exec, exec, s[0:1]
	s_waitcnt lgkmcnt(1)
	v_pk_add_f32 v[36:37], v[28:29], v[24:25] neg_lo:[0,1] neg_hi:[0,1]
	v_pk_add_f32 v[26:27], v[30:31], v[26:27] neg_lo:[0,1] neg_hi:[0,1]
	s_waitcnt lgkmcnt(0)
	v_pk_add_f32 v[14:15], v[34:35], v[14:15] neg_lo:[0,1] neg_hi:[0,1]
	v_pk_add_f32 v[42:43], v[32:33], v[12:13] neg_lo:[0,1] neg_hi:[0,1]
	v_pk_fma_f32 v[12:13], v[28:29], 2.0, v[36:37] op_sel_hi:[1,0,1] neg_lo:[0,0,1] neg_hi:[0,0,1]
	v_pk_fma_f32 v[28:29], v[30:31], 2.0, v[26:27] op_sel_hi:[1,0,1] neg_lo:[0,0,1] neg_hi:[0,0,1]
	;; [unrolled: 1-line block ×4, first 2 shown]
	v_pk_add_f32 v[30:31], v[28:29], v[30:31] neg_lo:[0,1] neg_hi:[0,1]
	v_pk_add_f32 v[32:33], v[12:13], v[24:25] neg_lo:[0,1] neg_hi:[0,1]
	v_pk_fma_f32 v[24:25], v[28:29], 2.0, v[30:31] op_sel_hi:[1,0,1] neg_lo:[0,0,1] neg_hi:[0,0,1]
	v_pk_add_f32 v[28:29], v[36:37], v[42:43] op_sel:[0,1] op_sel_hi:[1,0] neg_lo:[0,1] neg_hi:[0,1]
	v_pk_add_f32 v[42:43], v[36:37], v[42:43] op_sel:[0,1] op_sel_hi:[1,0]
	v_pk_add_f32 v[50:51], v[26:27], v[14:15] op_sel:[0,1] op_sel_hi:[1,0]
	v_mov_b32_e32 v43, v29
	v_pk_add_f32 v[28:29], v[26:27], v[14:15] op_sel:[0,1] op_sel_hi:[1,0] neg_lo:[0,1] neg_hi:[0,1]
	v_fma_f32 v26, v26, 2.0, -v50
	v_fma_f32 v28, v27, 2.0, -v29
	v_mul_f32_e32 v27, 0x3f3504f3, v26
	v_pk_fma_f32 v[36:37], v[36:37], 2.0, v[42:43] op_sel_hi:[1,0,1] neg_lo:[0,0,1] neg_hi:[0,0,1]
	v_mov_b32_e32 v51, v29
	v_mul_f32_e32 v15, 0x3f3504f3, v28
	v_mov_b32_e32 v14, v31
	v_mov_b32_e32 v31, v27
	v_fmamk_f32 v27, v26, 0xbf3504f3, v36
	v_fmamk_f32 v29, v28, 0xbf3504f3, v37
	v_mov_b32_e32 v26, v32
	v_mov_b32_e32 v28, v33
	v_pk_add_f32 v[44:45], v[14:15], v[26:27]
	v_pk_add_f32 v[28:29], v[28:29], v[30:31] neg_lo:[0,1] neg_hi:[0,1]
	s_mov_b32 s0, 0x3f3504f3
	v_mov_b32_e32 v34, v44
	v_mov_b32_e32 v35, v28
	;; [unrolled: 1-line block ×4, first 2 shown]
	v_pk_fma_f32 v[12:13], v[12:13], 2.0, v[32:33] op_sel_hi:[1,0,1] neg_lo:[0,0,1] neg_hi:[0,0,1]
	v_pk_fma_f32 v[30:31], v[32:33], 2.0, v[34:35] op_sel_hi:[1,0,1] neg_lo:[0,0,1] neg_hi:[0,0,1]
	;; [unrolled: 1-line block ×3, first 2 shown]
	v_pk_mul_f32 v[32:33], v[50:51], s[0:1] op_sel_hi:[1,0]
	v_pk_fma_f32 v[36:37], v[50:51], s[0:1], v[42:43] op_sel_hi:[1,0,1]
	v_pk_add_f32 v[24:25], v[12:13], v[24:25] neg_lo:[0,1] neg_hi:[0,1]
	v_pk_add_f32 v[50:51], v[36:37], v[32:33] op_sel:[0,1] op_sel_hi:[1,0] neg_lo:[0,1] neg_hi:[0,1]
	v_pk_add_f32 v[36:37], v[36:37], v[32:33] op_sel:[0,1] op_sel_hi:[1,0]
	v_pk_fma_f32 v[12:13], v[12:13], 2.0, v[24:25] op_sel_hi:[1,0,1] neg_lo:[0,0,1] neg_hi:[0,0,1]
	v_mov_b32_e32 v37, v51
	v_pk_fma_f32 v[32:33], v[42:43], 2.0, v[36:37] op_sel_hi:[1,0,1] neg_lo:[0,0,1] neg_hi:[0,0,1]
	s_waitcnt lgkmcnt(0)
	; wave barrier
	s_and_saveexec_b64 s[0:1], vcc
	s_cbranch_execz .LBB0_19
; %bb.18:
	v_lshlrev_b32_e32 v42, 3, v48
	ds_write_b128 v42, v[12:15]
	ds_write_b128 v42, v[30:33] offset:16
	ds_write_b128 v42, v[24:27] offset:32
	;; [unrolled: 1-line block ×3, first 2 shown]
.LBB0_19:
	s_or_b64 exec, exec, s[0:1]
	s_waitcnt lgkmcnt(0)
	; wave barrier
	s_waitcnt lgkmcnt(0)
	s_and_saveexec_b64 s[0:1], s[2:3]
	s_xor_b64 s[0:1], exec, s[0:1]
	s_andn2_saveexec_b64 s[0:1], s[0:1]
	s_cbranch_execz .LBB0_21
; %bb.20:
	ds_read_b64 v[24:25], v39 offset:1920
	ds_read2_b64 v[26:29], v39 offset0:160 offset1:200
	ds_read2_b64 v[12:15], v39 offset1:40
	ds_read2_b64 v[30:33], v39 offset0:80 offset1:120
	s_waitcnt lgkmcnt(3)
	v_mov_b32_e32 v44, v24
	s_waitcnt lgkmcnt(2)
	v_mov_b32_e32 v45, v28
	v_mov_b32_e32 v28, v25
	v_mov_b64_e32 v[24:25], v[26:27]
.LBB0_21:
	s_or_b64 exec, exec, s[0:1]
	v_mov_b32_e32 v42, v20
	v_mov_b32_e32 v43, v20
	;; [unrolled: 1-line block ×12, first 2 shown]
	s_waitcnt lgkmcnt(0)
	; wave barrier
	s_waitcnt lgkmcnt(0)
	s_and_saveexec_b64 s[0:1], s[4:5]
	s_cbranch_execz .LBB0_23
; %bb.22:
	v_mov_b32_e32 v50, v9
	v_mov_b32_e32 v51, v8
	;; [unrolled: 1-line block ×3, first 2 shown]
	v_pk_mul_f32 v[56:57], v[40:41], v[48:49]
	v_mov_b32_e32 v48, v33
	v_pk_mul_f32 v[62:63], v[50:51], v[32:33]
	v_pk_mul_f32 v[58:59], v[50:51], v[48:49]
	v_mov_b32_e32 v48, v63
	v_pk_mul_f32 v[8:9], v[8:9], v[32:33]
	v_pk_fma_f32 v[32:33], v[50:51], v[32:33], v[48:49] neg_lo:[1,0,0] neg_hi:[1,0,0]
	v_pk_mul_f32 v[50:51], v[40:41], v[24:25]
	v_pk_mul_f32 v[54:55], v[6:7], v[44:45] op_sel_hi:[1,0]
	v_mov_b32_e32 v48, v51
	v_pk_mul_f32 v[52:53], v[0:1], v[14:15] op_sel_hi:[1,0]
	v_pk_mul_f32 v[10:11], v[10:11], v[24:25]
	v_pk_fma_f32 v[24:25], v[40:41], v[24:25], v[48:49] neg_lo:[1,0,0] neg_hi:[1,0,0]
	v_pk_fma_f32 v[40:41], v[6:7], v[28:29], v[54:55] op_sel:[0,0,1] op_sel_hi:[1,1,0] neg_lo:[0,0,1] neg_hi:[0,0,1]
	v_pk_fma_f32 v[6:7], v[6:7], v[28:29], v[54:55] op_sel:[0,0,1] op_sel_hi:[1,0,0]
	v_pk_mul_f32 v[44:45], v[4:5], v[44:45] op_sel:[0,1]
	v_mov_b32_e32 v41, v7
	v_pk_fma_f32 v[6:7], v[0:1], v[14:15], v[52:53] op_sel:[0,1,1] op_sel_hi:[1,1,0] neg_lo:[0,0,1] neg_hi:[0,0,1]
	v_pk_fma_f32 v[0:1], v[0:1], v[14:15], v[52:53] op_sel:[0,1,1] op_sel_hi:[1,1,0]
	v_pk_mul_f32 v[60:61], v[2:3], v[30:31] op_sel_hi:[1,0]
	v_mul_u32_u24_e32 v9, 56, v49
	v_mov_b32_e32 v7, v1
	v_pk_fma_f32 v[0:1], v[4:5], v[28:29], v[44:45] op_sel:[0,1,1] op_sel_hi:[1,1,0] neg_lo:[0,0,1] neg_hi:[0,0,1]
	v_pk_fma_f32 v[4:5], v[4:5], v[28:29], v[44:45] op_sel:[0,1,1] op_sel_hi:[1,1,0]
	v_or_b32_e32 v9, v9, v47
	v_mov_b32_e32 v1, v5
	v_pk_fma_f32 v[4:5], v[2:3], v[30:31], v[60:61] op_sel:[0,1,1] op_sel_hi:[1,1,0] neg_lo:[0,0,1] neg_hi:[0,0,1]
	v_pk_fma_f32 v[2:3], v[2:3], v[30:31], v[60:61] op_sel:[0,1,1] op_sel_hi:[1,1,0]
	v_lshlrev_b32_e32 v47, 3, v9
	v_mov_b32_e32 v5, v3
	v_mov_b32_e32 v9, v40
	;; [unrolled: 1-line block ×5, first 2 shown]
	v_pk_add_f32 v[2:3], v[40:41], v[6:7]
	v_pk_add_f32 v[14:15], v[0:1], v[4:5]
	v_pk_add_f32 v[28:29], v[6:7], v[40:41] neg_lo:[0,1] neg_hi:[0,1]
	v_pk_add_f32 v[30:31], v[4:5], v[0:1] neg_lo:[0,1] neg_hi:[0,1]
	v_pk_add_f32 v[6:7], v[8:9], v[58:59]
	v_pk_add_f32 v[0:1], v[10:11], v[56:57]
	v_mov_b32_e32 v33, v6
	v_mov_b32_e32 v25, v0
	v_pk_add_f32 v[4:5], v[24:25], v[32:33] neg_lo:[0,1] neg_hi:[0,1]
	s_mov_b32 s2, 0xbeae86e6
	v_mov_b32_e32 v10, v4
	s_mov_b32 s3, 0x3f08b237
	v_pk_add_f32 v[40:41], v[4:5], v[30:31]
	v_mov_b32_e32 v44, v4
	v_mov_b32_e32 v45, v29
	;; [unrolled: 1-line block ×6, first 2 shown]
	v_pk_add_f32 v[4:5], v[44:45], v[4:5] neg_lo:[0,1] neg_hi:[0,1]
	s_mov_b32 s6, s3
	s_mov_b32 s7, s2
	v_mov_b32_e32 v44, v15
	v_mov_b32_e32 v45, v24
	;; [unrolled: 1-line block ×4, first 2 shown]
	v_pk_add_f32 v[8:9], v[8:9], v[10:11] neg_lo:[0,1] neg_hi:[0,1]
	v_pk_mul_f32 v[4:5], v[4:5], s[6:7]
	v_pk_add_f32 v[24:25], v[44:45], v[24:25]
	v_pk_add_f32 v[32:33], v[0:1], v[6:7]
	v_pk_mul_f32 v[10:11], v[8:9], s[2:3]
	v_pk_fma_f32 v[8:9], v[8:9], s[2:3], v[4:5]
	v_pk_add_f32 v[44:45], v[24:25], v[32:33]
	v_mov_b32_e32 v24, v3
	v_mov_b32_e32 v33, v1
	s_mov_b32 s2, 0x3f4a47b2
	v_pk_add_f32 v[48:49], v[24:25], v[32:33] neg_lo:[0,1] neg_hi:[0,1]
	s_mov_b32 s3, 0x3d64c772
	v_mov_b32_e32 v33, v7
	v_mov_b32_e32 v24, v15
	v_pk_add_f32 v[24:25], v[32:33], v[24:25] neg_lo:[0,1] neg_hi:[0,1]
	s_mov_b32 s6, s3
	s_mov_b32 s7, s2
	v_pk_mul_f32 v[24:25], v[24:25], s[6:7]
	v_pk_add_f32 v[12:13], v[12:13], v[44:45]
	v_pk_mul_f32 v[50:51], v[48:49], s[2:3]
	v_pk_fma_f32 v[32:33], v[48:49], s[2:3], v[24:25]
	s_mov_b32 s2, 0xbf955555
	v_pk_add_f32 v[40:41], v[40:41], v[28:29]
	s_mov_b32 s4, 0xbee1c552
	v_pk_fma_f32 v[44:45], v[44:45], s[2:3], v[12:13] op_sel_hi:[1,0,1]
	v_pk_fma_f32 v[8:9], v[40:41], s[4:5], v[8:9] op_sel_hi:[1,0,1]
	v_pk_add_f32 v[32:33], v[32:33], v[44:45]
	v_mov_b32_e32 v0, v15
	v_pk_add_f32 v[48:49], v[32:33], v[8:9]
	v_pk_add_f32 v[8:9], v[32:33], v[8:9] neg_lo:[0,1] neg_hi:[0,1]
	v_mov_b32_e32 v32, v48
	v_mov_b32_e32 v33, v9
	;; [unrolled: 1-line block ×3, first 2 shown]
	ds_write2_b64 v47, v[12:13], v[32:33] offset1:8
	v_pk_add_f32 v[12:13], v[30:31], v[28:29] neg_lo:[0,1] neg_hi:[0,1]
	s_mov_b32 s2, 0xbf5ff5aa
	v_mov_b32_e32 v28, v10
	v_mov_b32_e32 v29, v5
	v_pk_add_f32 v[0:1], v[0:1], v[6:7] neg_lo:[0,1] neg_hi:[0,1]
	s_mov_b32 s6, 0x3f3bfb3b
	v_mov_b32_e32 v2, v50
	v_mov_b32_e32 v3, v25
	;; [unrolled: 1-line block ×4, first 2 shown]
	v_pk_fma_f32 v[28:29], v[12:13], s[2:3], v[28:29] op_sel_hi:[1,0,1] neg_lo:[1,0,1] neg_hi:[1,0,1]
	v_pk_fma_f32 v[2:3], v[0:1], s[6:7], v[2:3] op_sel_hi:[1,0,1] neg_lo:[1,0,1] neg_hi:[1,0,1]
	;; [unrolled: 1-line block ×4, first 2 shown]
	v_pk_fma_f32 v[28:29], v[40:41], s[4:5], v[28:29] op_sel_hi:[1,0,1]
	v_pk_add_f32 v[2:3], v[2:3], v[44:45]
	v_pk_fma_f32 v[4:5], v[40:41], s[4:5], v[4:5] op_sel_hi:[1,0,1]
	v_pk_add_f32 v[0:1], v[0:1], v[44:45]
	v_pk_add_f32 v[6:7], v[2:3], v[28:29]
	v_pk_add_f32 v[2:3], v[2:3], v[28:29] neg_lo:[0,1] neg_hi:[0,1]
	v_pk_add_f32 v[10:11], v[0:1], v[4:5] neg_lo:[0,1] neg_hi:[0,1]
	v_pk_add_f32 v[0:1], v[0:1], v[4:5]
	v_mov_b32_e32 v14, v6
	v_mov_b32_e32 v15, v3
	v_mov_b32_e32 v4, v10
	v_mov_b32_e32 v5, v1
	v_mov_b32_e32 v1, v11
	v_mov_b32_e32 v3, v7
	v_mov_b32_e32 v9, v49
	ds_write2_b64 v47, v[14:15], v[4:5] offset0:16 offset1:24
	ds_write2_b64 v47, v[0:1], v[2:3] offset0:32 offset1:40
	ds_write_b64 v47, v[8:9] offset:384
.LBB0_23:
	s_or_b64 exec, exec, s[0:1]
	s_waitcnt lgkmcnt(0)
	; wave barrier
	s_waitcnt lgkmcnt(0)
	ds_read2_b64 v[0:3], v39 offset1:56
	ds_read2_b64 v[4:7], v39 offset0:112 offset1:168
	ds_read_b64 v[8:9], v39 offset:1792
	s_mov_b32 s0, 0x3f737871
	s_mov_b32 s2, 0x3f167918
	s_waitcnt lgkmcnt(2)
	v_pk_mul_f32 v[10:11], v[20:21], v[2:3]
	s_mov_b32 s4, 0x3e9e377a
	v_pk_fma_f32 v[12:13], v[42:43], v[2:3], v[10:11] op_sel:[0,0,1] op_sel_hi:[1,1,0]
	v_pk_fma_f32 v[2:3], v[42:43], v[2:3], v[10:11] op_sel:[0,0,1] op_sel_hi:[1,1,0] neg_lo:[0,0,1] neg_hi:[0,0,1]
	s_nop 0
	v_mov_b32_e32 v13, v3
	s_waitcnt lgkmcnt(1)
	v_pk_mul_f32 v[2:3], v[22:23], v[4:5]
	s_nop 0
	v_pk_fma_f32 v[10:11], v[36:37], v[4:5], v[2:3] op_sel:[0,0,1] op_sel_hi:[1,1,0]
	v_pk_fma_f32 v[2:3], v[36:37], v[4:5], v[2:3] op_sel:[0,0,1] op_sel_hi:[1,1,0] neg_lo:[0,0,1] neg_hi:[0,0,1]
	s_nop 0
	v_mov_b32_e32 v11, v3
	v_pk_mul_f32 v[2:3], v[16:17], v[6:7]
	v_pk_add_f32 v[22:23], v[12:13], v[10:11] neg_lo:[0,1] neg_hi:[0,1]
	v_pk_fma_f32 v[4:5], v[34:35], v[6:7], v[2:3] op_sel:[0,0,1] op_sel_hi:[1,1,0]
	v_pk_fma_f32 v[2:3], v[34:35], v[6:7], v[2:3] op_sel:[0,0,1] op_sel_hi:[1,1,0] neg_lo:[0,0,1] neg_hi:[0,0,1]
	s_nop 0
	v_mov_b32_e32 v5, v3
	s_waitcnt lgkmcnt(0)
	v_pk_mul_f32 v[2:3], v[18:19], v[8:9]
	v_pk_add_f32 v[18:19], v[10:11], v[4:5] neg_lo:[0,1] neg_hi:[0,1]
	v_pk_fma_f32 v[6:7], v[26:27], v[8:9], v[2:3] op_sel:[0,0,1] op_sel_hi:[1,1,0]
	v_pk_fma_f32 v[2:3], v[26:27], v[8:9], v[2:3] op_sel:[0,0,1] op_sel_hi:[1,1,0] neg_lo:[0,0,1] neg_hi:[0,0,1]
	v_pk_add_f32 v[8:9], v[10:11], v[4:5]
	v_mov_b32_e32 v7, v3
	v_pk_add_f32 v[14:15], v[12:13], v[6:7] neg_lo:[0,1] neg_hi:[0,1]
	v_pk_fma_f32 v[8:9], v[8:9], 0.5, v[0:1] op_sel_hi:[1,0,1] neg_lo:[1,0,0] neg_hi:[1,0,0]
	v_pk_mul_f32 v[16:17], v[14:15], s[0:1] op_sel_hi:[1,0]
	v_pk_add_f32 v[24:25], v[6:7], v[4:5] neg_lo:[0,1] neg_hi:[0,1]
	v_pk_add_f32 v[2:3], v[0:1], v[12:13]
	v_pk_mul_f32 v[20:21], v[18:19], s[2:3] op_sel_hi:[1,0]
	v_pk_add_f32 v[22:23], v[22:23], v[24:25]
	v_pk_add_f32 v[24:25], v[8:9], v[16:17] op_sel:[0,1] op_sel_hi:[1,0] neg_lo:[0,1] neg_hi:[0,1]
	v_pk_add_f32 v[8:9], v[8:9], v[16:17] op_sel:[0,1] op_sel_hi:[1,0]
	v_pk_add_f32 v[2:3], v[2:3], v[10:11]
	v_pk_add_f32 v[8:9], v[8:9], v[20:21] op_sel:[0,1] op_sel_hi:[1,0]
	v_pk_add_f32 v[16:17], v[24:25], v[20:21] op_sel:[0,1] op_sel_hi:[1,0] neg_lo:[0,1] neg_hi:[0,1]
	v_pk_add_f32 v[2:3], v[2:3], v[4:5]
	v_mov_b32_e32 v20, v16
	v_mov_b32_e32 v21, v9
	v_pk_add_f32 v[2:3], v[2:3], v[6:7]
	v_pk_fma_f32 v[20:21], v[22:23], s[4:5], v[20:21] op_sel_hi:[1,0,1]
	ds_write2_b64 v39, v[2:3], v[20:21] offset1:56
	v_pk_add_f32 v[2:3], v[12:13], v[6:7]
	v_pk_add_f32 v[4:5], v[4:5], v[6:7] neg_lo:[0,1] neg_hi:[0,1]
	v_pk_fma_f32 v[0:1], v[2:3], 0.5, v[0:1] op_sel_hi:[1,0,1] neg_lo:[1,0,0] neg_hi:[1,0,0]
	v_pk_add_f32 v[2:3], v[10:11], v[12:13] neg_lo:[0,1] neg_hi:[0,1]
	v_pk_mul_f32 v[6:7], v[14:15], s[2:3] op_sel_hi:[1,0]
	v_pk_add_f32 v[2:3], v[2:3], v[4:5]
	v_pk_mul_f32 v[4:5], v[18:19], s[0:1] op_sel_hi:[1,0]
	v_mov_b32_e32 v9, v17
	v_pk_add_f32 v[10:11], v[0:1], v[4:5] op_sel:[0,1] op_sel_hi:[1,0]
	v_pk_add_f32 v[0:1], v[0:1], v[4:5] op_sel:[0,1] op_sel_hi:[1,0] neg_lo:[0,1] neg_hi:[0,1]
	v_pk_add_f32 v[4:5], v[10:11], v[6:7] op_sel:[0,1] op_sel_hi:[1,0] neg_lo:[0,1] neg_hi:[0,1]
	v_pk_add_f32 v[0:1], v[0:1], v[6:7] op_sel:[0,1] op_sel_hi:[1,0]
	v_mov_b32_e32 v6, v4
	v_mov_b32_e32 v7, v1
	;; [unrolled: 1-line block ×3, first 2 shown]
	v_pk_fma_f32 v[6:7], v[2:3], s[4:5], v[6:7] op_sel_hi:[1,0,1]
	v_pk_fma_f32 v[0:1], v[2:3], s[4:5], v[0:1] op_sel_hi:[1,0,1]
	ds_write2_b64 v39, v[6:7], v[0:1] offset0:112 offset1:168
	v_pk_fma_f32 v[0:1], v[22:23], s[4:5], v[8:9] op_sel_hi:[1,0,1]
	ds_write_b64 v39, v[0:1] offset:1792
	s_waitcnt lgkmcnt(0)
	; wave barrier
	s_waitcnt lgkmcnt(0)
	s_and_b64 exec, exec, vcc
	s_cbranch_execz .LBB0_25
; %bb.24:
	global_load_dwordx2 v[8:9], v39, s[12:13]
	global_load_dwordx2 v[10:11], v39, s[12:13] offset:280
	global_load_dwordx2 v[12:13], v39, s[12:13] offset:560
	;; [unrolled: 1-line block ×5, first 2 shown]
	ds_read_b64 v[28:29], v39 offset:1960
	ds_read_b64 v[22:23], v39
	ds_read2_b64 v[0:3], v39 offset0:35 offset1:70
	ds_read2_b64 v[4:7], v39 offset0:105 offset1:140
	global_load_dwordx2 v[30:31], v39, s[12:13] offset:1680
	global_load_dwordx2 v[32:33], v39, s[12:13] offset:1960
	v_mad_u64_u32 v[20:21], s[0:1], s10, v38, 0
	v_mad_u64_u32 v[24:25], s[2:3], s8, v46, 0
	v_mov_b32_e32 v34, v21
	v_mov_b32_e32 v36, v25
	v_mad_u64_u32 v[34:35], s[2:3], s11, v38, v[34:35]
	v_mov_b32_e32 v18, s14
	v_mov_b32_e32 v19, s15
	;; [unrolled: 3-line block ×3, first 2 shown]
	v_lshl_add_u64 v[18:19], v[20:21], 3, v[18:19]
	v_mov_b32_e32 v40, 0x118
	v_lshl_add_u64 v[18:19], v[24:25], 3, v[18:19]
	s_mul_i32 s4, s9, 0x118
	v_mad_u64_u32 v[20:21], s[2:3], s8, v40, v[18:19]
	s_mov_b32 s0, 0x1d41d41d
	v_add_u32_e32 v21, s4, v21
	s_mov_b32 s1, 0x3f6d41d4
	v_mad_u64_u32 v[24:25], s[2:3], s8, v40, v[20:21]
	v_add_u32_e32 v25, s4, v25
	v_mad_u64_u32 v[34:35], s[2:3], s8, v40, v[24:25]
	v_add_u32_e32 v35, s4, v35
	s_waitcnt vmcnt(7) lgkmcnt(2)
	v_mul_f32_e32 v36, v23, v9
	v_mul_f32_e32 v9, v22, v9
	s_waitcnt vmcnt(6) lgkmcnt(1)
	v_mul_f32_e32 v37, v1, v11
	v_mul_f32_e32 v11, v0, v11
	s_waitcnt vmcnt(5)
	v_mul_f32_e32 v38, v3, v13
	v_mul_f32_e32 v13, v2, v13
	s_waitcnt vmcnt(4) lgkmcnt(0)
	v_mul_f32_e32 v41, v5, v15
	v_mul_f32_e32 v15, v4, v15
	v_fmac_f32_e32 v36, v22, v8
	v_fma_f32 v8, v8, v23, -v9
	v_fmac_f32_e32 v37, v0, v10
	v_fma_f32 v9, v10, v1, -v11
	;; [unrolled: 2-line block ×4, first 2 shown]
	v_cvt_f64_f32_e32 v[0:1], v36
	v_cvt_f64_f32_e32 v[2:3], v8
	s_waitcnt vmcnt(3)
	v_mul_f32_e32 v42, v7, v17
	v_cvt_f64_f32_e32 v[4:5], v37
	v_cvt_f64_f32_e32 v[8:9], v9
	;; [unrolled: 1-line block ×6, first 2 shown]
	v_mul_f64 v[0:1], v[0:1], s[0:1]
	v_mul_f64 v[2:3], v[2:3], s[0:1]
	;; [unrolled: 1-line block ×8, first 2 shown]
	v_cvt_f32_f64_e32 v0, v[0:1]
	v_cvt_f32_f64_e32 v1, v[2:3]
	v_fmac_f32_e32 v42, v6, v16
	v_cvt_f32_f64_e32 v2, v[4:5]
	v_cvt_f32_f64_e32 v3, v[8:9]
	;; [unrolled: 1-line block ×6, first 2 shown]
	global_store_dwordx2 v[18:19], v[0:1], off
	global_store_dwordx2 v[20:21], v[2:3], off
	;; [unrolled: 1-line block ×4, first 2 shown]
	v_cvt_f64_f32_e32 v[0:1], v42
	v_mul_f64 v[0:1], v[0:1], s[0:1]
	v_cvt_f32_f64_e32 v4, v[0:1]
	v_mul_f32_e32 v0, v6, v17
	v_fma_f32 v0, v16, v7, -v0
	v_cvt_f64_f32_e32 v[0:1], v0
	v_mul_f64 v[0:1], v[0:1], s[0:1]
	v_cvt_f32_f64_e32 v5, v[0:1]
	ds_read2_b64 v[0:3], v39 offset0:175 offset1:210
	v_mad_u64_u32 v[6:7], s[2:3], s8, v40, v[34:35]
	v_add_u32_e32 v7, s4, v7
	global_store_dwordx2 v[6:7], v[4:5], off
	s_waitcnt vmcnt(7) lgkmcnt(0)
	v_mul_f32_e32 v4, v1, v27
	v_fmac_f32_e32 v4, v0, v26
	v_mul_f32_e32 v0, v0, v27
	v_fma_f32 v0, v26, v1, -v0
	v_cvt_f64_f32_e32 v[4:5], v4
	v_cvt_f64_f32_e32 v[0:1], v0
	v_mul_f64 v[4:5], v[4:5], s[0:1]
	v_mul_f64 v[0:1], v[0:1], s[0:1]
	v_cvt_f32_f64_e32 v4, v[4:5]
	v_cvt_f32_f64_e32 v5, v[0:1]
	v_mad_u64_u32 v[0:1], s[2:3], s8, v40, v[6:7]
	v_add_u32_e32 v1, s4, v1
	global_store_dwordx2 v[0:1], v[4:5], off
	s_waitcnt vmcnt(7)
	v_mul_f32_e32 v4, v3, v31
	v_fmac_f32_e32 v4, v2, v30
	v_mul_f32_e32 v2, v2, v31
	v_fma_f32 v2, v30, v3, -v2
	v_cvt_f64_f32_e32 v[4:5], v4
	v_cvt_f64_f32_e32 v[2:3], v2
	v_mul_f64 v[4:5], v[4:5], s[0:1]
	v_mul_f64 v[2:3], v[2:3], s[0:1]
	v_cvt_f32_f64_e32 v4, v[4:5]
	v_cvt_f32_f64_e32 v5, v[2:3]
	s_waitcnt vmcnt(6)
	v_mul_f32_e32 v2, v29, v33
	v_fmac_f32_e32 v2, v28, v32
	v_cvt_f64_f32_e32 v[2:3], v2
	v_mul_f64 v[2:3], v[2:3], s[0:1]
	v_mad_u64_u32 v[0:1], s[2:3], s8, v40, v[0:1]
	v_cvt_f32_f64_e32 v2, v[2:3]
	v_mul_f32_e32 v3, v28, v33
	v_add_u32_e32 v1, s4, v1
	v_fma_f32 v3, v32, v29, -v3
	global_store_dwordx2 v[0:1], v[4:5], off
	v_cvt_f64_f32_e32 v[4:5], v3
	v_mul_f64 v[4:5], v[4:5], s[0:1]
	v_mad_u64_u32 v[0:1], s[0:1], s8, v40, v[0:1]
	v_cvt_f32_f64_e32 v3, v[4:5]
	v_add_u32_e32 v1, s4, v1
	global_store_dwordx2 v[0:1], v[2:3], off
.LBB0_25:
	s_endpgm
	.section	.rodata,"a",@progbits
	.p2align	6, 0x0
	.amdhsa_kernel bluestein_single_fwd_len280_dim1_sp_op_CI_CI
		.amdhsa_group_segment_fixed_size 2240
		.amdhsa_private_segment_fixed_size 0
		.amdhsa_kernarg_size 104
		.amdhsa_user_sgpr_count 2
		.amdhsa_user_sgpr_dispatch_ptr 0
		.amdhsa_user_sgpr_queue_ptr 0
		.amdhsa_user_sgpr_kernarg_segment_ptr 1
		.amdhsa_user_sgpr_dispatch_id 0
		.amdhsa_user_sgpr_kernarg_preload_length 0
		.amdhsa_user_sgpr_kernarg_preload_offset 0
		.amdhsa_user_sgpr_private_segment_size 0
		.amdhsa_uses_dynamic_stack 0
		.amdhsa_enable_private_segment 0
		.amdhsa_system_sgpr_workgroup_id_x 1
		.amdhsa_system_sgpr_workgroup_id_y 0
		.amdhsa_system_sgpr_workgroup_id_z 0
		.amdhsa_system_sgpr_workgroup_info 0
		.amdhsa_system_vgpr_workitem_id 0
		.amdhsa_next_free_vgpr 77
		.amdhsa_next_free_sgpr 28
		.amdhsa_accum_offset 80
		.amdhsa_reserve_vcc 1
		.amdhsa_float_round_mode_32 0
		.amdhsa_float_round_mode_16_64 0
		.amdhsa_float_denorm_mode_32 3
		.amdhsa_float_denorm_mode_16_64 3
		.amdhsa_dx10_clamp 1
		.amdhsa_ieee_mode 1
		.amdhsa_fp16_overflow 0
		.amdhsa_tg_split 0
		.amdhsa_exception_fp_ieee_invalid_op 0
		.amdhsa_exception_fp_denorm_src 0
		.amdhsa_exception_fp_ieee_div_zero 0
		.amdhsa_exception_fp_ieee_overflow 0
		.amdhsa_exception_fp_ieee_underflow 0
		.amdhsa_exception_fp_ieee_inexact 0
		.amdhsa_exception_int_div_zero 0
	.end_amdhsa_kernel
	.text
.Lfunc_end0:
	.size	bluestein_single_fwd_len280_dim1_sp_op_CI_CI, .Lfunc_end0-bluestein_single_fwd_len280_dim1_sp_op_CI_CI
                                        ; -- End function
	.section	.AMDGPU.csdata,"",@progbits
; Kernel info:
; codeLenInByte = 5712
; NumSgprs: 34
; NumVgprs: 77
; NumAgprs: 0
; TotalNumVgprs: 77
; ScratchSize: 0
; MemoryBound: 0
; FloatMode: 240
; IeeeMode: 1
; LDSByteSize: 2240 bytes/workgroup (compile time only)
; SGPRBlocks: 4
; VGPRBlocks: 9
; NumSGPRsForWavesPerEU: 34
; NumVGPRsForWavesPerEU: 77
; AccumOffset: 80
; Occupancy: 6
; WaveLimiterHint : 1
; COMPUTE_PGM_RSRC2:SCRATCH_EN: 0
; COMPUTE_PGM_RSRC2:USER_SGPR: 2
; COMPUTE_PGM_RSRC2:TRAP_HANDLER: 0
; COMPUTE_PGM_RSRC2:TGID_X_EN: 1
; COMPUTE_PGM_RSRC2:TGID_Y_EN: 0
; COMPUTE_PGM_RSRC2:TGID_Z_EN: 0
; COMPUTE_PGM_RSRC2:TIDIG_COMP_CNT: 0
; COMPUTE_PGM_RSRC3_GFX90A:ACCUM_OFFSET: 19
; COMPUTE_PGM_RSRC3_GFX90A:TG_SPLIT: 0
	.text
	.p2alignl 6, 3212836864
	.fill 256, 4, 3212836864
	.type	__hip_cuid_c29d7269deb1e792,@object ; @__hip_cuid_c29d7269deb1e792
	.section	.bss,"aw",@nobits
	.globl	__hip_cuid_c29d7269deb1e792
__hip_cuid_c29d7269deb1e792:
	.byte	0                               ; 0x0
	.size	__hip_cuid_c29d7269deb1e792, 1

	.ident	"AMD clang version 19.0.0git (https://github.com/RadeonOpenCompute/llvm-project roc-6.4.0 25133 c7fe45cf4b819c5991fe208aaa96edf142730f1d)"
	.section	".note.GNU-stack","",@progbits
	.addrsig
	.addrsig_sym __hip_cuid_c29d7269deb1e792
	.amdgpu_metadata
---
amdhsa.kernels:
  - .agpr_count:     0
    .args:
      - .actual_access:  read_only
        .address_space:  global
        .offset:         0
        .size:           8
        .value_kind:     global_buffer
      - .actual_access:  read_only
        .address_space:  global
        .offset:         8
        .size:           8
        .value_kind:     global_buffer
      - .actual_access:  read_only
        .address_space:  global
        .offset:         16
        .size:           8
        .value_kind:     global_buffer
      - .actual_access:  read_only
        .address_space:  global
        .offset:         24
        .size:           8
        .value_kind:     global_buffer
      - .actual_access:  read_only
        .address_space:  global
        .offset:         32
        .size:           8
        .value_kind:     global_buffer
      - .offset:         40
        .size:           8
        .value_kind:     by_value
      - .address_space:  global
        .offset:         48
        .size:           8
        .value_kind:     global_buffer
      - .address_space:  global
        .offset:         56
        .size:           8
        .value_kind:     global_buffer
      - .address_space:  global
        .offset:         64
        .size:           8
        .value_kind:     global_buffer
      - .address_space:  global
        .offset:         72
        .size:           8
        .value_kind:     global_buffer
      - .offset:         80
        .size:           4
        .value_kind:     by_value
      - .address_space:  global
        .offset:         88
        .size:           8
        .value_kind:     global_buffer
      - .address_space:  global
        .offset:         96
        .size:           8
        .value_kind:     global_buffer
    .group_segment_fixed_size: 2240
    .kernarg_segment_align: 8
    .kernarg_segment_size: 104
    .language:       OpenCL C
    .language_version:
      - 2
      - 0
    .max_flat_workgroup_size: 56
    .name:           bluestein_single_fwd_len280_dim1_sp_op_CI_CI
    .private_segment_fixed_size: 0
    .sgpr_count:     34
    .sgpr_spill_count: 0
    .symbol:         bluestein_single_fwd_len280_dim1_sp_op_CI_CI.kd
    .uniform_work_group_size: 1
    .uses_dynamic_stack: false
    .vgpr_count:     77
    .vgpr_spill_count: 0
    .wavefront_size: 64
amdhsa.target:   amdgcn-amd-amdhsa--gfx950
amdhsa.version:
  - 1
  - 2
...

	.end_amdgpu_metadata
